;; amdgpu-corpus repo=ROCm/rocFFT kind=compiled arch=gfx1201 opt=O3
	.text
	.amdgcn_target "amdgcn-amd-amdhsa--gfx1201"
	.amdhsa_code_object_version 6
	.protected	fft_rtc_back_len128_factors_8_4_4_wgs_128_tpt_16_half_op_CI_CI_sbrc_z_xy_diag_dirReg ; -- Begin function fft_rtc_back_len128_factors_8_4_4_wgs_128_tpt_16_half_op_CI_CI_sbrc_z_xy_diag_dirReg
	.globl	fft_rtc_back_len128_factors_8_4_4_wgs_128_tpt_16_half_op_CI_CI_sbrc_z_xy_diag_dirReg
	.p2align	8
	.type	fft_rtc_back_len128_factors_8_4_4_wgs_128_tpt_16_half_op_CI_CI_sbrc_z_xy_diag_dirReg,@function
fft_rtc_back_len128_factors_8_4_4_wgs_128_tpt_16_half_op_CI_CI_sbrc_z_xy_diag_dirReg: ; @fft_rtc_back_len128_factors_8_4_4_wgs_128_tpt_16_half_op_CI_CI_sbrc_z_xy_diag_dirReg
; %bb.0:
	s_load_b256 s[4:11], s[0:1], 0x0
	s_wait_kmcnt 0x0
	s_load_b128 s[12:15], s[8:9], 0x8
	s_load_b128 s[16:19], s[10:11], 0x0
	s_wait_kmcnt 0x0
	s_load_b32 s19, s[10:11], 0x10
	s_mov_b32 s9, 0
	s_add_co_i32 s2, s12, -1
	s_delay_alu instid0(SALU_CYCLE_1) | instskip(NEXT) | instid1(SALU_CYCLE_1)
	s_lshr_b32 s2, s2, 3
	s_add_co_i32 s2, s2, 1
	s_delay_alu instid0(SALU_CYCLE_1) | instskip(NEXT) | instid1(SALU_CYCLE_1)
	s_mul_i32 s2, s2, s14
	s_cvt_f32_u32 s3, s2
	s_sub_co_i32 s8, 0, s2
	s_delay_alu instid0(SALU_CYCLE_2) | instskip(NEXT) | instid1(TRANS32_DEP_1)
	v_rcp_iflag_f32_e32 v1, s3
	v_readfirstlane_b32 s3, v1
	v_mad_co_u64_u32 v[1:2], null, s16, v0, 0
	s_delay_alu instid0(VALU_DEP_2) | instskip(NEXT) | instid1(VALU_DEP_1)
	s_mul_f32 s3, s3, 0x4f7ffffe
	v_mad_co_u64_u32 v[2:3], null, s17, v0, v[2:3]
	s_wait_alu 0xfffe
	s_delay_alu instid0(SALU_CYCLE_1) | instskip(SKIP_2) | instid1(SALU_CYCLE_1)
	s_cvt_u32_f32 s3, s3
	s_mov_b32 s17, s9
	s_wait_alu 0xfffe
	s_mul_i32 s8, s8, s3
	s_delay_alu instid0(SALU_CYCLE_1) | instskip(NEXT) | instid1(VALU_DEP_1)
	s_mul_hi_u32 s8, s3, s8
	v_lshlrev_b64_e32 v[1:2], 2, v[1:2]
	s_add_co_i32 s3, s3, s8
	s_wait_alu 0xfffe
	s_mul_hi_u32 s3, ttmp9, s3
	s_wait_alu 0xfffe
	s_mul_i32 s8, s3, s2
	s_add_co_i32 s12, s3, 1
	s_sub_co_i32 s8, ttmp9, s8
	s_delay_alu instid0(SALU_CYCLE_1)
	s_sub_co_i32 s13, s8, s2
	s_cmp_ge_u32 s8, s2
	s_cselect_b32 s3, s12, s3
	s_cselect_b32 s8, s13, s8
	s_wait_alu 0xfffe
	s_add_co_i32 s16, s3, 1
	s_cmp_ge_u32 s8, s2
	s_clause 0x1
	s_load_b128 s[12:15], s[0:1], 0x58
	s_load_b64 s[20:21], s[0:1], 0x20
	s_cselect_b32 s16, s16, s3
	s_lshl_b64 s[0:1], s[6:7], 3
	s_wait_alu 0xfffe
	s_mul_i32 s2, s16, s2
	s_wait_alu 0xfffe
	s_sub_co_i32 s6, ttmp9, s2
	s_add_nc_u64 s[2:3], s[10:11], s[0:1]
	s_and_b32 s7, s6, 15
	s_load_b64 s[2:3], s[2:3], 0x0
	s_lshr_b32 s6, s6, 4
	s_lshl_b32 s11, s7, 3
	s_add_co_i32 s6, s6, s7
	s_delay_alu instid0(SALU_CYCLE_1)
	s_and_b32 s10, s6, 0x7f
	s_mul_i32 s6, s11, s18
	s_wait_kmcnt 0x0
	s_mul_i32 s7, s10, s19
	s_mov_b32 s19, s9
	s_add_co_i32 s8, s7, s6
	s_lshl_b64 s[26:27], s[18:19], 2
	s_lshl_b64 s[6:7], s[8:9], 2
	s_add_co_i32 s8, s18, s18
	s_delay_alu instid0(SALU_CYCLE_1) | instskip(SKIP_1) | instid1(SALU_CYCLE_1)
	s_lshl_b64 s[22:23], s[8:9], 2
	s_add_co_i32 s8, s8, s18
	s_lshl_b64 s[24:25], s[8:9], 2
	s_add_co_i32 s8, s8, s18
	s_mul_u64 s[2:3], s[2:3], s[16:17]
	s_lshl_b64 s[28:29], s[8:9], 2
	s_wait_alu 0xfffe
	s_lshl_b64 s[2:3], s[2:3], 2
	s_add_co_i32 s8, s8, s18
	s_wait_alu 0xfffe
	s_add_nc_u64 s[2:3], s[12:13], s[2:3]
	s_lshl_b64 s[30:31], s[8:9], 2
	s_wait_alu 0xfffe
	s_add_nc_u64 s[2:3], s[2:3], s[6:7]
	s_add_co_i32 s8, s8, s18
	s_wait_alu 0xfffe
	v_add_co_u32 v1, vcc_lo, s2, v1
	v_add_co_ci_u32_e32 v2, vcc_lo, s3, v2, vcc_lo
	s_lshl_b64 s[34:35], s[8:9], 2
	s_delay_alu instid0(VALU_DEP_2) | instskip(SKIP_1) | instid1(VALU_DEP_2)
	v_add_co_u32 v3, vcc_lo, v1, s26
	s_wait_alu 0xfffd
	v_add_co_ci_u32_e32 v4, vcc_lo, s27, v2, vcc_lo
	v_add_co_u32 v5, vcc_lo, v1, s22
	s_wait_alu 0xfffd
	v_add_co_ci_u32_e32 v6, vcc_lo, s23, v2, vcc_lo
	;; [unrolled: 3-line block ×4, first 2 shown]
	v_add_co_u32 v11, vcc_lo, v1, s30
	s_add_co_i32 s8, s8, s18
	s_wait_alu 0xfffd
	v_add_co_ci_u32_e32 v12, vcc_lo, s31, v2, vcc_lo
	v_add_co_u32 v13, vcc_lo, v1, s34
	s_lshl_b64 s[2:3], s[8:9], 2
	s_wait_alu 0xfffd
	v_add_co_ci_u32_e32 v14, vcc_lo, s35, v2, vcc_lo
	s_wait_alu 0xfffe
	v_add_co_u32 v15, vcc_lo, v1, s2
	s_wait_alu 0xfffd
	v_add_co_ci_u32_e32 v16, vcc_lo, s3, v2, vcc_lo
	s_clause 0x7
	global_load_b32 v2, v[1:2], off
	global_load_b32 v3, v[3:4], off
	;; [unrolled: 1-line block ×8, first 2 shown]
	v_lshrrev_b32_e32 v11, 3, v0
	v_and_b32_e32 v14, 7, v0
	v_lshl_add_u32 v10, v0, 5, 0
	s_add_nc_u64 s[6:7], s[20:21], s[0:1]
	s_load_b128 s[0:3], s[20:21], 0x0
	v_lshlrev_b32_e32 v1, 5, v11
	v_lshlrev_b32_e32 v12, 2, v14
	s_wait_kmcnt 0x0
	s_clause 0x1
	s_load_b32 s3, s[20:21], 0x10
	s_load_b64 s[6:7], s[6:7], 0x0
	v_bfe_u32 v13, v0, 3, 3
	v_lshrrev_b32_e32 v0, 1, v0
	s_wait_loadcnt 0x6
	ds_store_2addr_b32 v10, v2, v3 offset1:1
	s_wait_loadcnt 0x4
	ds_store_2addr_b32 v10, v4, v5 offset0:2 offset1:3
	s_wait_loadcnt 0x2
	ds_store_2addr_b32 v10, v6, v7 offset0:4 offset1:5
	;; [unrolled: 2-line block ×3, first 2 shown]
	v_add3_u32 v1, 0, v1, v12
	global_wb scope:SCOPE_SE
	s_wait_dscnt 0x0
	s_wait_kmcnt 0x0
	s_barrier_signal -1
	s_barrier_wait -1
	global_inv scope:SCOPE_SE
	ds_load_2addr_stride64_b32 v[2:3], v1 offset1:2
	ds_load_2addr_stride64_b32 v[4:5], v1 offset0:4 offset1:6
	ds_load_2addr_stride64_b32 v[6:7], v1 offset0:8 offset1:10
	ds_load_2addr_stride64_b32 v[8:9], v1 offset0:12 offset1:14
	v_mul_u32_u24_e32 v10, 3, v13
	v_mad_u32_u24 v15, 0xe0, v11, v1
	global_wb scope:SCOPE_SE
	s_wait_dscnt 0x0
	s_barrier_signal -1
	s_barrier_wait -1
	v_lshlrev_b32_e32 v10, 2, v10
	global_inv scope:SCOPE_SE
	v_and_or_b32 v0, v0, 32, v13
	s_mul_i32 s8, s10, s2
	s_delay_alu instid0(VALU_DEP_1) | instskip(NEXT) | instid1(VALU_DEP_1)
	v_lshlrev_b32_e32 v0, 5, v0
	v_add3_u32 v0, 0, v0, v12
	v_pk_add_f16 v6, v2, v6 neg_lo:[0,1] neg_hi:[0,1]
	v_pk_add_f16 v8, v4, v8 neg_lo:[0,1] neg_hi:[0,1]
	;; [unrolled: 1-line block ×4, first 2 shown]
	s_delay_alu instid0(VALU_DEP_4) | instskip(NEXT) | instid1(VALU_DEP_4)
	v_lshrrev_b32_e32 v17, 16, v6
	v_lshrrev_b32_e32 v16, 16, v8
	s_delay_alu instid0(VALU_DEP_4) | instskip(NEXT) | instid1(VALU_DEP_4)
	v_lshrrev_b32_e32 v19, 16, v7
	v_lshrrev_b32_e32 v18, 16, v9
	v_pk_fma_f16 v2, v2, 2.0, v6 op_sel_hi:[1,0,1] neg_lo:[0,0,1] neg_hi:[0,0,1]
	v_pk_fma_f16 v4, v4, 2.0, v8 op_sel_hi:[1,0,1] neg_lo:[0,0,1] neg_hi:[0,0,1]
	;; [unrolled: 1-line block ×4, first 2 shown]
	v_add_f16_e32 v16, v6, v16
	v_sub_f16_e32 v8, v17, v8
	v_add_f16_e32 v18, v7, v18
	v_sub_f16_e32 v9, v19, v9
	v_pk_add_f16 v4, v2, v4 neg_lo:[0,1] neg_hi:[0,1]
	v_pk_add_f16 v5, v3, v5 neg_lo:[0,1] neg_hi:[0,1]
	v_fma_f16 v6, v6, 2.0, -v16
	v_fma_f16 v17, v17, 2.0, -v8
	;; [unrolled: 1-line block ×4, first 2 shown]
	v_alignbit_b32 v20, s0, v5, 16
	v_alignbit_b32 v22, s0, v4, 16
	v_fmamk_f16 v23, v18, 0x39a8, v16
	v_fmamk_f16 v24, v9, 0x39a8, v8
	;; [unrolled: 1-line block ×4, first 2 shown]
	v_pk_fma_f16 v3, v3, 2.0, v5 op_sel_hi:[1,0,1] neg_lo:[0,0,1] neg_hi:[0,0,1]
	v_lshrrev_b32_e32 v21, 16, v4
	v_pk_add_f16 v20, v4, v20
	v_pk_add_f16 v5, v22, v5 neg_lo:[0,1] neg_hi:[0,1]
	v_fmac_f16_e32 v23, 0x39a8, v9
	v_fmac_f16_e32 v24, 0xb9a8, v18
	v_pk_fma_f16 v2, v2, 2.0, v4 op_sel_hi:[1,0,1] neg_lo:[0,0,1] neg_hi:[0,0,1]
	v_fmac_f16_e32 v25, 0x39a8, v19
	v_fmac_f16_e32 v26, 0xb9a8, v7
	v_fma_f16 v4, v4, 2.0, -v20
	v_fma_f16 v7, v21, 2.0, -v5
	;; [unrolled: 1-line block ×4, first 2 shown]
	v_pk_add_f16 v3, v2, v3 neg_lo:[0,1] neg_hi:[0,1]
	v_fma_f16 v6, v6, 2.0, -v25
	v_fma_f16 v16, v17, 2.0, -v26
	v_pack_b32_f16 v5, v20, v5
	v_pack_b32_f16 v17, v23, v24
	;; [unrolled: 1-line block ×5, first 2 shown]
	v_pk_fma_f16 v2, v2, 2.0, v3 op_sel_hi:[1,0,1] neg_lo:[0,0,1] neg_hi:[0,0,1]
	v_pack_b32_f16 v6, v6, v16
	ds_store_2addr_b32 v15, v5, v17 offset0:48 offset1:56
	ds_store_2addr_b32 v15, v4, v7 offset0:16 offset1:24
	;; [unrolled: 1-line block ×3, first 2 shown]
	ds_store_2addr_b32 v15, v2, v6 offset1:8
	global_wb scope:SCOPE_SE
	s_wait_dscnt 0x0
	s_barrier_signal -1
	s_barrier_wait -1
	global_inv scope:SCOPE_SE
	global_load_b96 v[2:4], v10, s[4:5]
	v_or_b32_e32 v20, 16, v11
	v_mul_u32_u24_e32 v17, 3, v11
	s_delay_alu instid0(VALU_DEP_2) | instskip(SKIP_2) | instid1(VALU_DEP_4)
	v_lshlrev_b32_e32 v5, 5, v20
	v_lshlrev_b32_e32 v15, 2, v20
	v_mul_u32_u24_e32 v18, 3, v20
	v_lshlrev_b32_e32 v17, 2, v17
	s_delay_alu instid0(VALU_DEP_4)
	v_add3_u32 v31, 0, v5, v12
	ds_load_2addr_stride64_b32 v[5:6], v1 offset1:4
	ds_load_2addr_stride64_b32 v[7:8], v1 offset0:6 offset1:8
	ds_load_2addr_stride64_b32 v[9:10], v1 offset0:10 offset1:12
	ds_load_b32 v16, v1 offset:3584
	v_and_or_b32 v13, 0x60, v15, v13
	v_lshlrev_b32_e32 v18, 2, v18
	ds_load_b32 v15, v31
	global_wb scope:SCOPE_SE
	s_wait_loadcnt_dscnt 0x0
	s_barrier_signal -1
	v_lshlrev_b32_e32 v13, 5, v13
	s_barrier_wait -1
	global_inv scope:SCOPE_SE
	v_add3_u32 v12, 0, v13, v12
	v_lshrrev_b32_e32 v13, 16, v6
	v_lshrrev_b32_e32 v19, 16, v8
	;; [unrolled: 1-line block ×11, first 2 shown]
	s_delay_alu instid0(VALU_DEP_3) | instskip(SKIP_1) | instid1(VALU_DEP_4)
	v_mul_f16_e32 v30, v25, v13
	v_mul_f16_e32 v32, v25, v6
	;; [unrolled: 1-line block ×12, first 2 shown]
	v_fmac_f16_e32 v30, v2, v6
	v_fma_f16 v6, v2, v13, -v32
	v_fmac_f16_e32 v33, v3, v8
	v_fma_f16 v8, v3, v19, -v34
	;; [unrolled: 2-line block ×6, first 2 shown]
	v_sub_f16_e32 v7, v5, v33
	v_sub_f16_e32 v8, v26, v8
	;; [unrolled: 1-line block ×8, first 2 shown]
	v_fma_f16 v5, v5, 2.0, -v7
	v_fma_f16 v19, v26, 2.0, -v8
	;; [unrolled: 1-line block ×8, first 2 shown]
	v_add_f16_e32 v10, v7, v10
	v_sub_f16_e32 v9, v8, v9
	v_sub_f16_e32 v21, v5, v21
	;; [unrolled: 1-line block ×3, first 2 shown]
	v_add_f16_e32 v4, v13, v4
	v_sub_f16_e32 v16, v3, v16
	v_sub_f16_e32 v23, v15, v23
	;; [unrolled: 1-line block ×3, first 2 shown]
	v_fma_f16 v7, v7, 2.0, -v10
	v_fma_f16 v8, v8, 2.0, -v9
	v_pack_b32_f16 v9, v10, v9
	v_fma_f16 v5, v5, 2.0, -v21
	v_fma_f16 v10, v19, 2.0, -v6
	;; [unrolled: 1-line block ×4, first 2 shown]
	v_pack_b32_f16 v4, v4, v16
	v_fma_f16 v15, v15, 2.0, -v23
	v_fma_f16 v16, v22, 2.0, -v2
	v_pack_b32_f16 v7, v7, v8
	v_pack_b32_f16 v5, v5, v10
	;; [unrolled: 1-line block ×6, first 2 shown]
	ds_store_2addr_stride64_b32 v0, v5, v7 offset1:1
	ds_store_2addr_stride64_b32 v0, v6, v9 offset0:2 offset1:3
	ds_store_2addr_stride64_b32 v12, v8, v3 offset1:1
	ds_store_2addr_stride64_b32 v12, v2, v4 offset0:2 offset1:3
	global_wb scope:SCOPE_SE
	s_wait_dscnt 0x0
	s_barrier_signal -1
	s_barrier_wait -1
	global_inv scope:SCOPE_SE
	s_clause 0x1
	global_load_b96 v[2:4], v17, s[4:5] offset:96
	global_load_b96 v[5:7], v18, s[4:5] offset:96
	v_mul_lo_u32 v8, v11, s3
	v_mov_b32_e32 v9, 0
	v_or_b32_e32 v21, s11, v14
	s_lshl_b32 s4, s3, 5
	s_delay_alu instid0(VALU_DEP_1) | instskip(NEXT) | instid1(VALU_DEP_3)
	v_mad_co_u64_u32 v[14:15], null, s0, v21, 0
	v_lshlrev_b64_e32 v[10:11], 2, v[8:9]
	v_add_nc_u32_e32 v8, s4, v8
	s_delay_alu instid0(VALU_DEP_1) | instskip(SKIP_2) | instid1(VALU_DEP_2)
	v_lshlrev_b64_e32 v[12:13], 2, v[8:9]
	v_add_nc_u32_e32 v8, s4, v8
	v_mov_b32_e32 v0, v15
	v_lshlrev_b64_e32 v[16:17], 2, v[8:9]
	v_add_nc_u32_e32 v8, s4, v8
	s_delay_alu instid0(VALU_DEP_1)
	v_lshlrev_b64_e32 v[18:19], 2, v[8:9]
	v_mul_lo_u32 v8, v20, s3
	v_mad_co_u64_u32 v[20:21], null, s1, v21, v[0:1]
	s_mul_u64 s[2:3], s[6:7], s[16:17]
	s_lshl_b64 s[0:1], s[8:9], 2
	s_wait_alu 0xfffe
	s_lshl_b64 s[2:3], s[2:3], 2
	s_wait_alu 0xfffe
	s_add_nc_u64 s[2:3], s[14:15], s[2:3]
	v_lshlrev_b64_e32 v[21:22], 2, v[8:9]
	v_mov_b32_e32 v15, v20
	s_wait_alu 0xfffe
	s_add_nc_u64 s[0:1], s[2:3], s[0:1]
	v_add_nc_u32_e32 v8, s4, v8
	s_delay_alu instid0(VALU_DEP_2) | instskip(NEXT) | instid1(VALU_DEP_2)
	v_lshlrev_b64_e32 v[14:15], 2, v[14:15]
	v_lshlrev_b64_e32 v[23:24], 2, v[8:9]
	v_add_nc_u32_e32 v8, s4, v8
	s_wait_alu 0xfffe
	s_delay_alu instid0(VALU_DEP_3) | instskip(SKIP_3) | instid1(VALU_DEP_3)
	v_add_co_u32 v0, vcc_lo, s0, v14
	s_wait_alu 0xfffd
	v_add_co_ci_u32_e32 v32, vcc_lo, s1, v15, vcc_lo
	v_lshlrev_b64_e32 v[25:26], 2, v[8:9]
	v_add_co_u32 v10, vcc_lo, v0, v10
	s_wait_alu 0xfffd
	s_delay_alu instid0(VALU_DEP_3)
	v_add_co_ci_u32_e32 v11, vcc_lo, v32, v11, vcc_lo
	v_add_co_u32 v12, vcc_lo, v0, v12
	s_wait_alu 0xfffd
	v_add_co_ci_u32_e32 v13, vcc_lo, v32, v13, vcc_lo
	v_add_co_u32 v14, vcc_lo, v0, v16
	s_wait_alu 0xfffd
	v_add_co_ci_u32_e32 v15, vcc_lo, v32, v17, vcc_lo
	v_add_co_u32 v16, vcc_lo, v0, v18
	v_add_nc_u32_e32 v8, s4, v8
	s_wait_alu 0xfffd
	v_add_co_ci_u32_e32 v17, vcc_lo, v32, v19, vcc_lo
	ds_load_2addr_stride64_b32 v[18:19], v1 offset1:4
	ds_load_2addr_stride64_b32 v[27:28], v1 offset0:6 offset1:8
	ds_load_2addr_stride64_b32 v[29:30], v1 offset0:10 offset1:12
	v_add_co_u32 v20, vcc_lo, v0, v21
	s_wait_alu 0xfffd
	v_add_co_ci_u32_e32 v21, vcc_lo, v32, v22, vcc_lo
	v_lshlrev_b64_e32 v[8:9], 2, v[8:9]
	v_add_co_u32 v22, vcc_lo, v0, v23
	s_wait_alu 0xfffd
	v_add_co_ci_u32_e32 v23, vcc_lo, v32, v24, vcc_lo
	v_add_co_u32 v24, vcc_lo, v0, v25
	s_wait_alu 0xfffd
	v_add_co_ci_u32_e32 v25, vcc_lo, v32, v26, vcc_lo
	ds_load_b32 v31, v31
	v_add_co_u32 v8, vcc_lo, v0, v8
	ds_load_u16 v0, v1 offset:3586
	ds_load_b32 v1, v1 offset:3584
	s_wait_alu 0xfffd
	v_add_co_ci_u32_e32 v9, vcc_lo, v32, v9, vcc_lo
	s_wait_dscnt 0x5
	v_lshrrev_b32_e32 v26, 16, v19
	s_wait_dscnt 0x4
	v_lshrrev_b32_e32 v32, 16, v28
	;; [unrolled: 2-line block ×3, first 2 shown]
	v_lshrrev_b32_e32 v34, 16, v27
	v_lshrrev_b32_e32 v35, 16, v29
	;; [unrolled: 1-line block ×3, first 2 shown]
	s_wait_dscnt 0x2
	v_lshrrev_b32_e32 v37, 16, v31
	s_wait_loadcnt 0x1
	v_lshrrev_b32_e32 v38, 16, v2
	v_lshrrev_b32_e32 v39, 16, v3
	;; [unrolled: 1-line block ×3, first 2 shown]
	s_wait_loadcnt 0x0
	v_lshrrev_b32_e32 v41, 16, v5
	v_lshrrev_b32_e32 v42, 16, v6
	;; [unrolled: 1-line block ×3, first 2 shown]
	v_mul_f16_e32 v44, v38, v26
	v_mul_f16_e32 v38, v38, v19
	;; [unrolled: 1-line block ×10, first 2 shown]
	s_wait_dscnt 0x1
	v_mul_f16_e32 v49, v0, v43
	s_wait_dscnt 0x0
	v_mul_f16_e32 v43, v43, v1
	v_fmac_f16_e32 v44, v2, v19
	v_fma_f16 v2, v2, v26, -v38
	v_fmac_f16_e32 v45, v3, v28
	v_fma_f16 v3, v3, v32, -v39
	;; [unrolled: 2-line block ×6, first 2 shown]
	v_sub_f16_e32 v1, v18, v45
	v_sub_f16_e32 v3, v36, v3
	;; [unrolled: 1-line block ×8, first 2 shown]
	v_fma_f16 v18, v18, 2.0, -v1
	v_fma_f16 v27, v36, 2.0, -v3
	v_fma_f16 v28, v44, 2.0, -v7
	v_fma_f16 v2, v2, 2.0, -v4
	v_fma_f16 v29, v31, 2.0, -v19
	v_fma_f16 v30, v37, 2.0, -v6
	v_fma_f16 v31, v47, 2.0, -v26
	v_fma_f16 v5, v5, 2.0, -v0
	v_add_f16_e32 v4, v1, v4
	v_sub_f16_e32 v7, v3, v7
	v_sub_f16_e32 v28, v18, v28
	;; [unrolled: 1-line block ×3, first 2 shown]
	v_add_f16_e32 v0, v19, v0
	v_sub_f16_e32 v26, v6, v26
	v_sub_f16_e32 v31, v29, v31
	v_sub_f16_e32 v5, v30, v5
	v_fma_f16 v1, v1, 2.0, -v4
	v_fma_f16 v3, v3, 2.0, -v7
	v_pack_b32_f16 v4, v4, v7
	v_fma_f16 v7, v18, 2.0, -v28
	v_fma_f16 v18, v27, 2.0, -v2
	;; [unrolled: 1-line block ×4, first 2 shown]
	v_pack_b32_f16 v0, v0, v26
	v_fma_f16 v26, v29, 2.0, -v31
	v_fma_f16 v27, v30, 2.0, -v5
	v_pack_b32_f16 v1, v1, v3
	v_pack_b32_f16 v3, v7, v18
	;; [unrolled: 1-line block ×6, first 2 shown]
	s_clause 0x7
	global_store_b32 v[10:11], v3, off
	global_store_b32 v[12:13], v1, off
	;; [unrolled: 1-line block ×8, first 2 shown]
	s_nop 0
	s_sendmsg sendmsg(MSG_DEALLOC_VGPRS)
	s_endpgm
	.section	.rodata,"a",@progbits
	.p2align	6, 0x0
	.amdhsa_kernel fft_rtc_back_len128_factors_8_4_4_wgs_128_tpt_16_half_op_CI_CI_sbrc_z_xy_diag_dirReg
		.amdhsa_group_segment_fixed_size 0
		.amdhsa_private_segment_fixed_size 0
		.amdhsa_kernarg_size 104
		.amdhsa_user_sgpr_count 2
		.amdhsa_user_sgpr_dispatch_ptr 0
		.amdhsa_user_sgpr_queue_ptr 0
		.amdhsa_user_sgpr_kernarg_segment_ptr 1
		.amdhsa_user_sgpr_dispatch_id 0
		.amdhsa_user_sgpr_private_segment_size 0
		.amdhsa_wavefront_size32 1
		.amdhsa_uses_dynamic_stack 0
		.amdhsa_enable_private_segment 0
		.amdhsa_system_sgpr_workgroup_id_x 1
		.amdhsa_system_sgpr_workgroup_id_y 0
		.amdhsa_system_sgpr_workgroup_id_z 0
		.amdhsa_system_sgpr_workgroup_info 0
		.amdhsa_system_vgpr_workitem_id 0
		.amdhsa_next_free_vgpr 50
		.amdhsa_next_free_sgpr 36
		.amdhsa_reserve_vcc 1
		.amdhsa_float_round_mode_32 0
		.amdhsa_float_round_mode_16_64 0
		.amdhsa_float_denorm_mode_32 3
		.amdhsa_float_denorm_mode_16_64 3
		.amdhsa_fp16_overflow 0
		.amdhsa_workgroup_processor_mode 1
		.amdhsa_memory_ordered 1
		.amdhsa_forward_progress 0
		.amdhsa_round_robin_scheduling 0
		.amdhsa_exception_fp_ieee_invalid_op 0
		.amdhsa_exception_fp_denorm_src 0
		.amdhsa_exception_fp_ieee_div_zero 0
		.amdhsa_exception_fp_ieee_overflow 0
		.amdhsa_exception_fp_ieee_underflow 0
		.amdhsa_exception_fp_ieee_inexact 0
		.amdhsa_exception_int_div_zero 0
	.end_amdhsa_kernel
	.text
.Lfunc_end0:
	.size	fft_rtc_back_len128_factors_8_4_4_wgs_128_tpt_16_half_op_CI_CI_sbrc_z_xy_diag_dirReg, .Lfunc_end0-fft_rtc_back_len128_factors_8_4_4_wgs_128_tpt_16_half_op_CI_CI_sbrc_z_xy_diag_dirReg
                                        ; -- End function
	.section	.AMDGPU.csdata,"",@progbits
; Kernel info:
; codeLenInByte = 2984
; NumSgprs: 38
; NumVgprs: 50
; ScratchSize: 0
; MemoryBound: 0
; FloatMode: 240
; IeeeMode: 1
; LDSByteSize: 0 bytes/workgroup (compile time only)
; SGPRBlocks: 4
; VGPRBlocks: 6
; NumSGPRsForWavesPerEU: 38
; NumVGPRsForWavesPerEU: 50
; Occupancy: 16
; WaveLimiterHint : 1
; COMPUTE_PGM_RSRC2:SCRATCH_EN: 0
; COMPUTE_PGM_RSRC2:USER_SGPR: 2
; COMPUTE_PGM_RSRC2:TRAP_HANDLER: 0
; COMPUTE_PGM_RSRC2:TGID_X_EN: 1
; COMPUTE_PGM_RSRC2:TGID_Y_EN: 0
; COMPUTE_PGM_RSRC2:TGID_Z_EN: 0
; COMPUTE_PGM_RSRC2:TIDIG_COMP_CNT: 0
	.text
	.p2alignl 7, 3214868480
	.fill 96, 4, 3214868480
	.type	__hip_cuid_206620ebf71b6b85,@object ; @__hip_cuid_206620ebf71b6b85
	.section	.bss,"aw",@nobits
	.globl	__hip_cuid_206620ebf71b6b85
__hip_cuid_206620ebf71b6b85:
	.byte	0                               ; 0x0
	.size	__hip_cuid_206620ebf71b6b85, 1

	.ident	"AMD clang version 19.0.0git (https://github.com/RadeonOpenCompute/llvm-project roc-6.4.0 25133 c7fe45cf4b819c5991fe208aaa96edf142730f1d)"
	.section	".note.GNU-stack","",@progbits
	.addrsig
	.addrsig_sym __hip_cuid_206620ebf71b6b85
	.amdgpu_metadata
---
amdhsa.kernels:
  - .args:
      - .actual_access:  read_only
        .address_space:  global
        .offset:         0
        .size:           8
        .value_kind:     global_buffer
      - .offset:         8
        .size:           8
        .value_kind:     by_value
      - .actual_access:  read_only
        .address_space:  global
        .offset:         16
        .size:           8
        .value_kind:     global_buffer
      - .actual_access:  read_only
        .address_space:  global
        .offset:         24
        .size:           8
        .value_kind:     global_buffer
      - .actual_access:  read_only
        .address_space:  global
        .offset:         32
        .size:           8
        .value_kind:     global_buffer
      - .offset:         40
        .size:           8
        .value_kind:     by_value
      - .actual_access:  read_only
        .address_space:  global
        .offset:         48
        .size:           8
        .value_kind:     global_buffer
      - .actual_access:  read_only
        .address_space:  global
        .offset:         56
        .size:           8
        .value_kind:     global_buffer
      - .offset:         64
        .size:           4
        .value_kind:     by_value
      - .actual_access:  read_only
        .address_space:  global
        .offset:         72
        .size:           8
        .value_kind:     global_buffer
      - .actual_access:  read_only
        .address_space:  global
        .offset:         80
        .size:           8
        .value_kind:     global_buffer
      - .actual_access:  read_only
        .address_space:  global
        .offset:         88
        .size:           8
        .value_kind:     global_buffer
      - .actual_access:  write_only
        .address_space:  global
        .offset:         96
        .size:           8
        .value_kind:     global_buffer
    .group_segment_fixed_size: 0
    .kernarg_segment_align: 8
    .kernarg_segment_size: 104
    .language:       OpenCL C
    .language_version:
      - 2
      - 0
    .max_flat_workgroup_size: 128
    .name:           fft_rtc_back_len128_factors_8_4_4_wgs_128_tpt_16_half_op_CI_CI_sbrc_z_xy_diag_dirReg
    .private_segment_fixed_size: 0
    .sgpr_count:     38
    .sgpr_spill_count: 0
    .symbol:         fft_rtc_back_len128_factors_8_4_4_wgs_128_tpt_16_half_op_CI_CI_sbrc_z_xy_diag_dirReg.kd
    .uniform_work_group_size: 1
    .uses_dynamic_stack: false
    .vgpr_count:     50
    .vgpr_spill_count: 0
    .wavefront_size: 32
    .workgroup_processor_mode: 1
amdhsa.target:   amdgcn-amd-amdhsa--gfx1201
amdhsa.version:
  - 1
  - 2
...

	.end_amdgpu_metadata
